;; amdgpu-corpus repo=ROCm/rocFFT kind=compiled arch=gfx906 opt=O3
	.text
	.amdgcn_target "amdgcn-amd-amdhsa--gfx906"
	.amdhsa_code_object_version 6
	.protected	fft_rtc_back_len1134_factors_2_3_3_3_3_7_wgs_126_tpt_126_sp_op_CI_CI_sbrr_dirReg ; -- Begin function fft_rtc_back_len1134_factors_2_3_3_3_3_7_wgs_126_tpt_126_sp_op_CI_CI_sbrr_dirReg
	.globl	fft_rtc_back_len1134_factors_2_3_3_3_3_7_wgs_126_tpt_126_sp_op_CI_CI_sbrr_dirReg
	.p2align	8
	.type	fft_rtc_back_len1134_factors_2_3_3_3_3_7_wgs_126_tpt_126_sp_op_CI_CI_sbrr_dirReg,@function
fft_rtc_back_len1134_factors_2_3_3_3_3_7_wgs_126_tpt_126_sp_op_CI_CI_sbrr_dirReg: ; @fft_rtc_back_len1134_factors_2_3_3_3_3_7_wgs_126_tpt_126_sp_op_CI_CI_sbrr_dirReg
; %bb.0:
	s_load_dwordx4 s[16:19], s[4:5], 0x18
	s_load_dwordx4 s[12:15], s[4:5], 0x0
	;; [unrolled: 1-line block ×3, first 2 shown]
	v_mul_u32_u24_e32 v1, 0x209, v0
	v_add_u32_sdwa v5, s6, v1 dst_sel:DWORD dst_unused:UNUSED_PAD src0_sel:DWORD src1_sel:WORD_1
	s_waitcnt lgkmcnt(0)
	s_load_dwordx2 s[20:21], s[16:17], 0x0
	s_load_dwordx2 s[2:3], s[18:19], 0x0
	v_cmp_lt_u64_e64 s[0:1], s[14:15], 2
	v_mov_b32_e32 v3, 0
	v_mov_b32_e32 v1, 0
	;; [unrolled: 1-line block ×3, first 2 shown]
	s_and_b64 vcc, exec, s[0:1]
	v_mov_b32_e32 v2, 0
	s_cbranch_vccnz .LBB0_8
; %bb.1:
	s_load_dwordx2 s[0:1], s[4:5], 0x10
	s_add_u32 s6, s18, 8
	s_addc_u32 s7, s19, 0
	s_add_u32 s22, s16, 8
	v_mov_b32_e32 v1, 0
	s_addc_u32 s23, s17, 0
	v_mov_b32_e32 v2, 0
	s_waitcnt lgkmcnt(0)
	s_add_u32 s24, s0, 8
	v_mov_b32_e32 v21, v2
	s_addc_u32 s25, s1, 0
	s_mov_b64 s[26:27], 1
	v_mov_b32_e32 v20, v1
.LBB0_2:                                ; =>This Inner Loop Header: Depth=1
	s_load_dwordx2 s[28:29], s[24:25], 0x0
                                        ; implicit-def: $vgpr22_vgpr23
	s_waitcnt lgkmcnt(0)
	v_or_b32_e32 v4, s29, v6
	v_cmp_ne_u64_e32 vcc, 0, v[3:4]
	s_and_saveexec_b64 s[0:1], vcc
	s_xor_b64 s[30:31], exec, s[0:1]
	s_cbranch_execz .LBB0_4
; %bb.3:                                ;   in Loop: Header=BB0_2 Depth=1
	v_cvt_f32_u32_e32 v4, s28
	v_cvt_f32_u32_e32 v7, s29
	s_sub_u32 s0, 0, s28
	s_subb_u32 s1, 0, s29
	v_mac_f32_e32 v4, 0x4f800000, v7
	v_rcp_f32_e32 v4, v4
	v_mul_f32_e32 v4, 0x5f7ffffc, v4
	v_mul_f32_e32 v7, 0x2f800000, v4
	v_trunc_f32_e32 v7, v7
	v_mac_f32_e32 v4, 0xcf800000, v7
	v_cvt_u32_f32_e32 v7, v7
	v_cvt_u32_f32_e32 v4, v4
	v_mul_lo_u32 v8, s0, v7
	v_mul_hi_u32 v9, s0, v4
	v_mul_lo_u32 v11, s1, v4
	v_mul_lo_u32 v10, s0, v4
	v_add_u32_e32 v8, v9, v8
	v_add_u32_e32 v8, v8, v11
	v_mul_hi_u32 v9, v4, v10
	v_mul_lo_u32 v11, v4, v8
	v_mul_hi_u32 v13, v4, v8
	v_mul_hi_u32 v12, v7, v10
	v_mul_lo_u32 v10, v7, v10
	v_mul_hi_u32 v14, v7, v8
	v_add_co_u32_e32 v9, vcc, v9, v11
	v_addc_co_u32_e32 v11, vcc, 0, v13, vcc
	v_mul_lo_u32 v8, v7, v8
	v_add_co_u32_e32 v9, vcc, v9, v10
	v_addc_co_u32_e32 v9, vcc, v11, v12, vcc
	v_addc_co_u32_e32 v10, vcc, 0, v14, vcc
	v_add_co_u32_e32 v8, vcc, v9, v8
	v_addc_co_u32_e32 v9, vcc, 0, v10, vcc
	v_add_co_u32_e32 v4, vcc, v4, v8
	v_addc_co_u32_e32 v7, vcc, v7, v9, vcc
	v_mul_lo_u32 v8, s0, v7
	v_mul_hi_u32 v9, s0, v4
	v_mul_lo_u32 v10, s1, v4
	v_mul_lo_u32 v11, s0, v4
	v_add_u32_e32 v8, v9, v8
	v_add_u32_e32 v8, v8, v10
	v_mul_lo_u32 v12, v4, v8
	v_mul_hi_u32 v13, v4, v11
	v_mul_hi_u32 v14, v4, v8
	;; [unrolled: 1-line block ×3, first 2 shown]
	v_mul_lo_u32 v11, v7, v11
	v_mul_hi_u32 v9, v7, v8
	v_add_co_u32_e32 v12, vcc, v13, v12
	v_addc_co_u32_e32 v13, vcc, 0, v14, vcc
	v_mul_lo_u32 v8, v7, v8
	v_add_co_u32_e32 v11, vcc, v12, v11
	v_addc_co_u32_e32 v10, vcc, v13, v10, vcc
	v_addc_co_u32_e32 v9, vcc, 0, v9, vcc
	v_add_co_u32_e32 v8, vcc, v10, v8
	v_addc_co_u32_e32 v9, vcc, 0, v9, vcc
	v_add_co_u32_e32 v4, vcc, v4, v8
	v_addc_co_u32_e32 v9, vcc, v7, v9, vcc
	v_mad_u64_u32 v[7:8], s[0:1], v5, v9, 0
	v_mul_hi_u32 v10, v5, v4
	v_add_co_u32_e32 v11, vcc, v10, v7
	v_addc_co_u32_e32 v12, vcc, 0, v8, vcc
	v_mad_u64_u32 v[7:8], s[0:1], v6, v4, 0
	v_mad_u64_u32 v[9:10], s[0:1], v6, v9, 0
	v_add_co_u32_e32 v4, vcc, v11, v7
	v_addc_co_u32_e32 v4, vcc, v12, v8, vcc
	v_addc_co_u32_e32 v7, vcc, 0, v10, vcc
	v_add_co_u32_e32 v4, vcc, v4, v9
	v_addc_co_u32_e32 v9, vcc, 0, v7, vcc
	v_mul_lo_u32 v10, s29, v4
	v_mul_lo_u32 v11, s28, v9
	v_mad_u64_u32 v[7:8], s[0:1], s28, v4, 0
	v_add3_u32 v8, v8, v11, v10
	v_sub_u32_e32 v10, v6, v8
	v_mov_b32_e32 v11, s29
	v_sub_co_u32_e32 v7, vcc, v5, v7
	v_subb_co_u32_e64 v10, s[0:1], v10, v11, vcc
	v_subrev_co_u32_e64 v11, s[0:1], s28, v7
	v_subbrev_co_u32_e64 v10, s[0:1], 0, v10, s[0:1]
	v_cmp_le_u32_e64 s[0:1], s29, v10
	v_cndmask_b32_e64 v12, 0, -1, s[0:1]
	v_cmp_le_u32_e64 s[0:1], s28, v11
	v_cndmask_b32_e64 v11, 0, -1, s[0:1]
	v_cmp_eq_u32_e64 s[0:1], s29, v10
	v_cndmask_b32_e64 v10, v12, v11, s[0:1]
	v_add_co_u32_e64 v11, s[0:1], 2, v4
	v_addc_co_u32_e64 v12, s[0:1], 0, v9, s[0:1]
	v_add_co_u32_e64 v13, s[0:1], 1, v4
	v_addc_co_u32_e64 v14, s[0:1], 0, v9, s[0:1]
	v_subb_co_u32_e32 v8, vcc, v6, v8, vcc
	v_cmp_ne_u32_e64 s[0:1], 0, v10
	v_cmp_le_u32_e32 vcc, s29, v8
	v_cndmask_b32_e64 v10, v14, v12, s[0:1]
	v_cndmask_b32_e64 v12, 0, -1, vcc
	v_cmp_le_u32_e32 vcc, s28, v7
	v_cndmask_b32_e64 v7, 0, -1, vcc
	v_cmp_eq_u32_e32 vcc, s29, v8
	v_cndmask_b32_e32 v7, v12, v7, vcc
	v_cmp_ne_u32_e32 vcc, 0, v7
	v_cndmask_b32_e64 v7, v13, v11, s[0:1]
	v_cndmask_b32_e32 v23, v9, v10, vcc
	v_cndmask_b32_e32 v22, v4, v7, vcc
.LBB0_4:                                ;   in Loop: Header=BB0_2 Depth=1
	s_andn2_saveexec_b64 s[0:1], s[30:31]
	s_cbranch_execz .LBB0_6
; %bb.5:                                ;   in Loop: Header=BB0_2 Depth=1
	v_cvt_f32_u32_e32 v4, s28
	s_sub_i32 s30, 0, s28
	v_mov_b32_e32 v23, v3
	v_rcp_iflag_f32_e32 v4, v4
	v_mul_f32_e32 v4, 0x4f7ffffe, v4
	v_cvt_u32_f32_e32 v4, v4
	v_mul_lo_u32 v7, s30, v4
	v_mul_hi_u32 v7, v4, v7
	v_add_u32_e32 v4, v4, v7
	v_mul_hi_u32 v4, v5, v4
	v_mul_lo_u32 v7, v4, s28
	v_add_u32_e32 v8, 1, v4
	v_sub_u32_e32 v7, v5, v7
	v_subrev_u32_e32 v9, s28, v7
	v_cmp_le_u32_e32 vcc, s28, v7
	v_cndmask_b32_e32 v7, v7, v9, vcc
	v_cndmask_b32_e32 v4, v4, v8, vcc
	v_add_u32_e32 v8, 1, v4
	v_cmp_le_u32_e32 vcc, s28, v7
	v_cndmask_b32_e32 v22, v4, v8, vcc
.LBB0_6:                                ;   in Loop: Header=BB0_2 Depth=1
	s_or_b64 exec, exec, s[0:1]
	v_mul_lo_u32 v4, v23, s28
	v_mul_lo_u32 v9, v22, s29
	v_mad_u64_u32 v[7:8], s[0:1], v22, s28, 0
	s_load_dwordx2 s[0:1], s[22:23], 0x0
	s_load_dwordx2 s[28:29], s[6:7], 0x0
	v_add3_u32 v4, v8, v9, v4
	v_sub_co_u32_e32 v5, vcc, v5, v7
	v_subb_co_u32_e32 v4, vcc, v6, v4, vcc
	s_waitcnt lgkmcnt(0)
	v_mul_lo_u32 v6, s0, v4
	v_mul_lo_u32 v7, s1, v5
	v_mad_u64_u32 v[1:2], s[0:1], s0, v5, v[1:2]
	v_mul_lo_u32 v4, s28, v4
	v_mul_lo_u32 v8, s29, v5
	v_mad_u64_u32 v[20:21], s[0:1], s28, v5, v[20:21]
	s_add_u32 s26, s26, 1
	s_addc_u32 s27, s27, 0
	s_add_u32 s6, s6, 8
	v_add3_u32 v21, v8, v21, v4
	s_addc_u32 s7, s7, 0
	v_mov_b32_e32 v4, s14
	s_add_u32 s22, s22, 8
	v_mov_b32_e32 v5, s15
	s_addc_u32 s23, s23, 0
	v_cmp_ge_u64_e32 vcc, s[26:27], v[4:5]
	s_add_u32 s24, s24, 8
	v_add3_u32 v2, v7, v2, v6
	s_addc_u32 s25, s25, 0
	s_cbranch_vccnz .LBB0_9
; %bb.7:                                ;   in Loop: Header=BB0_2 Depth=1
	v_mov_b32_e32 v5, v22
	v_mov_b32_e32 v6, v23
	s_branch .LBB0_2
.LBB0_8:
	v_mov_b32_e32 v21, v2
	v_mov_b32_e32 v23, v6
	;; [unrolled: 1-line block ×4, first 2 shown]
.LBB0_9:
	s_load_dwordx2 s[0:1], s[4:5], 0x28
	s_lshl_b64 s[14:15], s[14:15], 3
	s_add_u32 s4, s18, s14
	s_addc_u32 s5, s19, s15
                                        ; implicit-def: $vgpr32
                                        ; implicit-def: $vgpr33
                                        ; implicit-def: $vgpr4
                                        ; implicit-def: $vgpr7
	s_waitcnt lgkmcnt(0)
	v_cmp_gt_u64_e32 vcc, s[0:1], v[22:23]
	v_cmp_le_u64_e64 s[0:1], s[0:1], v[22:23]
	s_and_saveexec_b64 s[6:7], s[0:1]
	s_xor_b64 s[0:1], exec, s[6:7]
; %bb.10:
	s_mov_b32 s6, 0x2082083
	v_mul_hi_u32 v1, v0, s6
	v_mul_u32_u24_e32 v1, 0x7e, v1
	v_sub_u32_e32 v32, v0, v1
	v_add_u32_e32 v33, 0x7e, v32
	v_add_u32_e32 v4, 0xfc, v32
	;; [unrolled: 1-line block ×3, first 2 shown]
                                        ; implicit-def: $vgpr0
                                        ; implicit-def: $vgpr1_vgpr2
; %bb.11:
	s_andn2_saveexec_b64 s[6:7], s[0:1]
	s_cbranch_execz .LBB0_13
; %bb.12:
	s_add_u32 s0, s16, s14
	s_mov_b32 s14, 0x2082083
	v_mul_hi_u32 v3, v0, s14
	s_addc_u32 s1, s17, s15
	s_load_dwordx2 s[0:1], s[0:1], 0x0
	v_mul_u32_u24_e32 v3, 0x7e, v3
	v_sub_u32_e32 v32, v0, v3
	v_mad_u64_u32 v[3:4], s[14:15], s20, v32, 0
	s_waitcnt lgkmcnt(0)
	v_mul_lo_u32 v9, s1, v22
	v_mul_lo_u32 v10, s0, v23
	v_mad_u64_u32 v[5:6], s[0:1], s0, v22, 0
	v_mov_b32_e32 v0, v4
	v_mad_u64_u32 v[7:8], s[0:1], s21, v32, v[0:1]
	v_add3_u32 v6, v6, v10, v9
	v_lshlrev_b64 v[5:6], 3, v[5:6]
	v_mov_b32_e32 v4, v7
	v_mov_b32_e32 v0, s9
	v_add_co_u32_e64 v7, s[0:1], s8, v5
	v_add_u32_e32 v33, 0x7e, v32
	v_addc_co_u32_e64 v8, s[0:1], v0, v6, s[0:1]
	v_mad_u64_u32 v[5:6], s[0:1], s20, v33, 0
	v_lshlrev_b64 v[0:1], 3, v[1:2]
	v_add_u32_e32 v14, 0x1f8, v32
	v_add_co_u32_e64 v31, s[0:1], v7, v0
	v_mov_b32_e32 v2, v6
	v_addc_co_u32_e64 v44, s[0:1], v8, v1, s[0:1]
	v_lshlrev_b64 v[0:1], 3, v[3:4]
	v_mad_u64_u32 v[2:3], s[0:1], s21, v33, v[2:3]
	v_add_u32_e32 v4, 0xfc, v32
	v_mad_u64_u32 v[8:9], s[0:1], s20, v4, 0
	v_mov_b32_e32 v6, v2
	v_add_co_u32_e64 v0, s[0:1], v31, v0
	v_lshlrev_b64 v[2:3], 3, v[5:6]
	v_mov_b32_e32 v5, v9
	v_addc_co_u32_e64 v1, s[0:1], v44, v1, s[0:1]
	v_mad_u64_u32 v[5:6], s[0:1], s21, v4, v[5:6]
	v_add_u32_e32 v7, 0x17a, v32
	v_mad_u64_u32 v[10:11], s[0:1], s20, v7, 0
	v_mov_b32_e32 v9, v5
	v_add_co_u32_e64 v2, s[0:1], v31, v2
	v_lshlrev_b64 v[5:6], 3, v[8:9]
	v_mov_b32_e32 v8, v11
	v_addc_co_u32_e64 v3, s[0:1], v44, v3, s[0:1]
	v_mad_u64_u32 v[8:9], s[0:1], s21, v7, v[8:9]
	v_mad_u64_u32 v[12:13], s[0:1], s20, v14, 0
	v_mov_b32_e32 v11, v8
	v_add_co_u32_e64 v5, s[0:1], v31, v5
	v_lshlrev_b64 v[8:9], 3, v[10:11]
	v_mov_b32_e32 v10, v13
	v_addc_co_u32_e64 v6, s[0:1], v44, v6, s[0:1]
	v_mad_u64_u32 v[10:11], s[0:1], s21, v14, v[10:11]
	v_add_u32_e32 v16, 0x276, v32
	v_mad_u64_u32 v[14:15], s[0:1], s20, v16, 0
	v_mov_b32_e32 v13, v10
	v_add_co_u32_e64 v8, s[0:1], v31, v8
	v_lshlrev_b64 v[10:11], 3, v[12:13]
	v_mov_b32_e32 v12, v15
	v_addc_co_u32_e64 v9, s[0:1], v44, v9, s[0:1]
	v_mad_u64_u32 v[12:13], s[0:1], s21, v16, v[12:13]
	v_add_u32_e32 v18, 0x2f4, v32
	;; [unrolled: 8-line block ×3, first 2 shown]
	v_mad_u64_u32 v[18:19], s[0:1], s20, v24, 0
	v_mov_b32_e32 v17, v14
	v_add_co_u32_e64 v12, s[0:1], v31, v12
	v_lshlrev_b64 v[14:15], 3, v[16:17]
	v_mov_b32_e32 v16, v19
	v_addc_co_u32_e64 v13, s[0:1], v44, v13, s[0:1]
	v_mad_u64_u32 v[16:17], s[0:1], s21, v24, v[16:17]
	v_add_co_u32_e64 v14, s[0:1], v31, v14
	v_mov_b32_e32 v19, v16
	v_add_u32_e32 v24, 0x3f0, v32
	v_addc_co_u32_e64 v15, s[0:1], v44, v15, s[0:1]
	v_lshlrev_b64 v[16:17], 3, v[18:19]
	v_mad_u64_u32 v[18:19], s[0:1], s20, v24, 0
	v_add_co_u32_e64 v16, s[0:1], v31, v16
	v_addc_co_u32_e64 v17, s[0:1], v44, v17, s[0:1]
	v_mad_u64_u32 v[24:25], s[0:1], s21, v24, v[19:20]
	global_load_dwordx2 v[25:26], v[0:1], off
	global_load_dwordx2 v[27:28], v[2:3], off
	;; [unrolled: 1-line block ×8, first 2 shown]
	v_lshl_add_u32 v2, v32, 3, 0
	v_mov_b32_e32 v19, v24
	v_lshlrev_b64 v[0:1], 3, v[18:19]
	v_add_u32_e32 v3, 0x400, v2
	v_add_co_u32_e64 v0, s[0:1], v31, v0
	v_addc_co_u32_e64 v1, s[0:1], v44, v1, s[0:1]
	global_load_dwordx2 v[0:1], v[0:1], off
	s_waitcnt vmcnt(7)
	ds_write2_b64 v2, v[25:26], v[27:28] offset1:126
	s_waitcnt vmcnt(5)
	ds_write2_b64 v3, v[29:30], v[34:35] offset0:124 offset1:250
	v_add_u32_e32 v3, 0xc00, v2
	s_waitcnt vmcnt(3)
	ds_write2_b64 v3, v[36:37], v[38:39] offset0:120 offset1:246
	v_add_u32_e32 v3, 0x1400, v2
	s_waitcnt vmcnt(1)
	ds_write2_b64 v3, v[40:41], v[42:43] offset0:116 offset1:242
	s_waitcnt vmcnt(0)
	ds_write_b64 v2, v[0:1] offset:8064
.LBB0_13:
	s_or_b64 exec, exec, s[6:7]
	v_lshlrev_b32_e32 v9, 3, v32
	v_add_u32_e32 v34, 0, v9
	v_add_u32_e32 v6, 0xc00, v34
	s_load_dwordx2 s[4:5], s[4:5], 0x0
	s_waitcnt lgkmcnt(0)
	s_barrier
	ds_read2_b64 v[10:13], v34 offset1:126
	ds_read2_b64 v[0:3], v6 offset0:120 offset1:183
	v_add_u32_e32 v8, 0x400, v34
	v_add_u32_e32 v5, 0x1400, v34
	ds_read2_b64 v[14:17], v8 offset0:124 offset1:250
	v_add_u32_e32 v8, 0x1c00, v34
	ds_read2_b64 v[24:27], v8 offset0:49 offset1:175
	ds_read2_b64 v[28:31], v5 offset0:53 offset1:179
	s_waitcnt lgkmcnt(3)
	v_sub_f32_e32 v2, v10, v2
	v_sub_f32_e32 v3, v11, v3
	v_fma_f32 v10, v10, 2.0, -v2
	v_fma_f32 v11, v11, 2.0, -v3
	v_add_u32_e32 v8, v34, v9
	s_waitcnt lgkmcnt(0)
	s_barrier
	ds_write2_b64 v8, v[10:11], v[2:3] offset1:1
	v_sub_f32_e32 v10, v12, v28
	v_sub_f32_e32 v11, v13, v29
	;; [unrolled: 1-line block ×6, first 2 shown]
	v_fma_f32 v12, v12, 2.0, -v10
	v_fma_f32 v13, v13, 2.0, -v11
	;; [unrolled: 1-line block ×6, first 2 shown]
	v_sub_f32_e32 v24, v0, v26
	v_sub_f32_e32 v25, v1, v27
	v_lshl_add_u32 v2, v33, 4, 0
	v_lshl_add_u32 v8, v4, 4, 0
	;; [unrolled: 1-line block ×3, first 2 shown]
	v_cmp_gt_u32_e64 s[0:1], 63, v32
	ds_write2_b64 v2, v[12:13], v[10:11] offset1:1
	ds_write2_b64 v8, v[14:15], v[18:19] offset1:1
	;; [unrolled: 1-line block ×3, first 2 shown]
	s_and_saveexec_b64 s[6:7], s[0:1]
	s_cbranch_execz .LBB0_15
; %bb.14:
	s_movk_i32 s0, 0x1f80
	v_fma_f32 v1, v1, 2.0, -v25
	v_fma_f32 v0, v0, 2.0, -v24
	v_add3_u32 v9, v34, v9, s0
	ds_write2_b64 v9, v[0:1], v[24:25] offset1:1
.LBB0_15:
	s_or_b64 exec, exec, s[6:7]
	v_and_b32_e32 v19, 1, v32
	v_lshlrev_b32_e32 v0, 4, v19
	s_waitcnt lgkmcnt(0)
	s_barrier
	global_load_dwordx4 v[9:12], v0, s[12:13]
	ds_read2_b64 v[13:16], v5 offset0:116 offset1:242
	v_lshlrev_b32_e32 v0, 3, v33
	ds_read2_b64 v[26:29], v6 offset0:120 offset1:246
	v_lshlrev_b32_e32 v1, 3, v7
	v_lshlrev_b32_e32 v17, 3, v4
	v_sub_u32_e32 v7, v2, v0
	v_sub_u32_e32 v3, v3, v1
	;; [unrolled: 1-line block ×3, first 2 shown]
	ds_read_b64 v[17:18], v7
	ds_read_b64 v[30:31], v3
	ds_read_b64 v[35:36], v34 offset:8064
	ds_read_b64 v[37:38], v34
	ds_read_b64 v[39:40], v1
	s_waitcnt vmcnt(0) lgkmcnt(0)
	s_barrier
	s_movk_i32 s0, 0xab
	v_mul_f32_e32 v8, v12, v14
	v_mul_f32_e32 v41, v12, v13
	;; [unrolled: 1-line block ×12, first 2 shown]
	v_fmac_f32_e32 v8, v11, v13
	v_fma_f32 v13, v11, v14, -v41
	v_fmac_f32_e32 v44, v11, v15
	v_fma_f32 v14, v11, v16, -v45
	;; [unrolled: 2-line block ×5, first 2 shown]
	v_fma_f32 v12, v11, v36, -v12
	v_fmac_f32_e32 v49, v11, v35
	v_add_f32_e32 v27, v9, v13
	v_add_f32_e32 v35, v17, v42
	;; [unrolled: 1-line block ×3, first 2 shown]
	v_sub_f32_e32 v41, v42, v44
	v_sub_f32_e32 v42, v16, v12
	v_add_f32_e32 v43, v40, v16
	v_add_f32_e32 v16, v16, v12
	;; [unrolled: 1-line block ×4, first 2 shown]
	v_sub_f32_e32 v31, v15, v14
	v_add_f32_e32 v28, v18, v15
	v_add_f32_e32 v15, v15, v14
	v_fmac_f32_e32 v38, -0.5, v27
	v_fmac_f32_e32 v40, -0.5, v16
	v_lshrrev_b32_e32 v16, 1, v32
	v_add_f32_e32 v10, v37, v48
	v_sub_f32_e32 v30, v48, v8
	v_fma_f32 v37, -0.5, v26, v37
	v_fmac_f32_e32 v18, -0.5, v15
	v_mov_b32_e32 v15, v38
	v_mul_u32_u24_e32 v16, 6, v16
	v_sub_f32_e32 v29, v9, v13
	v_add_f32_e32 v9, v11, v13
	v_add_f32_e32 v11, v28, v14
	v_mov_b32_e32 v14, v37
	v_fmac_f32_e32 v38, 0xbf5db3d7, v30
	v_fmac_f32_e32 v15, 0x3f5db3d7, v30
	v_or_b32_e32 v16, v16, v19
	v_lshrrev_b32_e32 v30, 1, v33
	v_add_f32_e32 v8, v10, v8
	v_fmac_f32_e32 v14, 0xbf5db3d7, v29
	v_mul_lo_u32 v30, v30, 6
	v_lshl_add_u32 v16, v16, 3, 0
	v_fmac_f32_e32 v37, 0x3f5db3d7, v29
	ds_write2_b64 v16, v[8:9], v[14:15] offset1:2
	ds_write_b64 v16, v[37:38] offset:32
	v_lshrrev_b32_e32 v9, 1, v4
	v_mul_lo_u32 v9, v9, 6
	v_fma_f32 v17, -0.5, v36, v17
	v_add_f32_e32 v47, v46, v49
	v_mov_b32_e32 v26, v17
	v_mov_b32_e32 v27, v18
	v_or_b32_e32 v8, v30, v19
	v_add_f32_e32 v45, v39, v46
	v_add_f32_e32 v10, v35, v44
	v_fma_f32 v39, -0.5, v47, v39
	v_fmac_f32_e32 v26, 0xbf5db3d7, v31
	v_fmac_f32_e32 v27, 0x3f5db3d7, v41
	v_lshl_add_u32 v8, v8, 3, 0
	v_sub_f32_e32 v46, v46, v49
	v_fmac_f32_e32 v17, 0x3f5db3d7, v31
	v_fmac_f32_e32 v18, 0xbf5db3d7, v41
	v_mov_b32_e32 v28, v39
	v_mov_b32_e32 v29, v40
	ds_write2_b64 v8, v[10:11], v[26:27] offset1:2
	ds_write_b64 v8, v[17:18] offset:32
	v_or_b32_e32 v8, v9, v19
	v_add_f32_e32 v13, v43, v12
	v_add_f32_e32 v12, v45, v49
	v_fmac_f32_e32 v28, 0xbf5db3d7, v42
	v_fmac_f32_e32 v29, 0x3f5db3d7, v46
	v_lshl_add_u32 v8, v8, 3, 0
	v_fmac_f32_e32 v39, 0x3f5db3d7, v42
	v_fmac_f32_e32 v40, 0xbf5db3d7, v46
	ds_write2_b64 v8, v[12:13], v[28:29] offset1:2
	ds_write_b64 v8, v[39:40] offset:32
	v_mul_lo_u16_sdwa v8, v32, s0 dst_sel:DWORD dst_unused:UNUSED_PAD src0_sel:BYTE_0 src1_sel:DWORD
	v_lshrrev_b16_e32 v19, 10, v8
	v_mul_lo_u16_sdwa v9, v33, s0 dst_sel:DWORD dst_unused:UNUSED_PAD src0_sel:BYTE_0 src1_sel:DWORD
	v_mul_lo_u16_e32 v8, 6, v19
	v_lshrrev_b16_e32 v48, 10, v9
	v_sub_u16_e32 v47, v32, v8
	v_mov_b32_e32 v8, 4
	v_mul_lo_u16_e32 v9, 6, v48
	v_lshlrev_b32_sdwa v17, v8, v47 dst_sel:DWORD dst_unused:UNUSED_PAD src0_sel:DWORD src1_sel:BYTE_0
	v_sub_u16_e32 v49, v33, v9
	s_mov_b32 s0, 0xaaab
	s_waitcnt lgkmcnt(0)
	s_barrier
	v_lshlrev_b32_sdwa v18, v8, v49 dst_sel:DWORD dst_unused:UNUSED_PAD src0_sel:DWORD src1_sel:BYTE_0
	global_load_dwordx4 v[9:12], v17, s[12:13] offset:32
	global_load_dwordx4 v[13:16], v18, s[12:13] offset:32
	v_mul_u32_u24_sdwa v17, v4, s0 dst_sel:DWORD dst_unused:UNUSED_PAD src0_sel:WORD_0 src1_sel:DWORD
	v_lshrrev_b32_e32 v50, 18, v17
	v_mul_lo_u16_e32 v17, 6, v50
	v_sub_u16_e32 v51, v4, v17
	v_lshlrev_b32_e32 v17, 4, v51
	global_load_dwordx4 v[26:29], v17, s[12:13] offset:32
	ds_read_b64 v[17:18], v7
	ds_read_b64 v[30:31], v3
	ds_read2_b64 v[35:38], v5 offset0:116 offset1:242
	ds_read2_b64 v[39:42], v6 offset0:120 offset1:246
	ds_read_b64 v[43:44], v34 offset:8064
	ds_read_b64 v[45:46], v34
	s_mov_b32 s0, 0xe38f
	s_waitcnt vmcnt(2) lgkmcnt(4)
	v_mul_f32_e32 v52, v10, v31
	v_mul_f32_e32 v10, v10, v30
	s_waitcnt lgkmcnt(3)
	v_mul_f32_e32 v53, v12, v36
	v_mul_f32_e32 v12, v12, v35
	v_fmac_f32_e32 v52, v9, v30
	v_fma_f32 v30, v9, v31, -v10
	v_fmac_f32_e32 v53, v11, v35
	s_waitcnt vmcnt(0) lgkmcnt(2)
	v_mul_f32_e32 v56, v27, v42
	v_mul_f32_e32 v27, v27, v41
	v_fma_f32 v11, v11, v36, -v12
	v_add_f32_e32 v10, v52, v53
	s_waitcnt lgkmcnt(0)
	v_add_f32_e32 v12, v46, v30
	v_fmac_f32_e32 v56, v26, v41
	v_fma_f32 v31, v26, v42, -v27
	v_add_f32_e32 v9, v45, v52
	v_fma_f32 v45, -0.5, v10, v45
	v_add_f32_e32 v10, v12, v11
	v_sub_f32_e32 v26, v30, v11
	v_add_f32_e32 v11, v30, v11
	v_fmac_f32_e32 v46, -0.5, v11
	v_mul_u32_u24_e32 v11, 0x90, v19
	v_mov_b32_e32 v19, 3
	v_mul_f32_e32 v57, v44, v29
	v_mul_f32_e32 v29, v43, v29
	v_lshlrev_b32_sdwa v12, v19, v47 dst_sel:DWORD dst_unused:UNUSED_PAD src0_sel:DWORD src1_sel:BYTE_0
	v_mul_f32_e32 v54, v16, v38
	v_mul_f32_e32 v55, v14, v40
	v_fmac_f32_e32 v57, v43, v28
	v_fma_f32 v28, v44, v28, -v29
	v_sub_f32_e32 v27, v52, v53
	v_add3_u32 v29, 0, v11, v12
	v_mov_b32_e32 v11, v45
	v_mov_b32_e32 v12, v46
	v_mul_f32_e32 v16, v16, v37
	v_mul_f32_e32 v14, v14, v39
	v_fmac_f32_e32 v54, v15, v37
	v_fmac_f32_e32 v55, v13, v39
	v_add_f32_e32 v9, v9, v53
	v_fmac_f32_e32 v11, 0xbf5db3d7, v26
	v_fmac_f32_e32 v12, 0x3f5db3d7, v27
	v_fma_f32 v15, v15, v38, -v16
	v_fma_f32 v16, v13, v40, -v14
	ds_read_b64 v[13:14], v1
	s_waitcnt lgkmcnt(0)
	s_barrier
	ds_write2_b64 v29, v[9:10], v[11:12] offset1:6
	v_add_f32_e32 v9, v55, v54
	v_add_f32_e32 v10, v17, v55
	v_fma_f32 v17, -0.5, v9, v17
	v_sub_f32_e32 v11, v16, v15
	v_mov_b32_e32 v9, v17
	v_fmac_f32_e32 v9, 0xbf5db3d7, v11
	v_fmac_f32_e32 v17, 0x3f5db3d7, v11
	v_add_f32_e32 v11, v10, v54
	v_add_f32_e32 v10, v18, v16
	v_add_f32_e32 v12, v10, v15
	v_add_f32_e32 v10, v16, v15
	v_fmac_f32_e32 v18, -0.5, v10
	v_sub_f32_e32 v15, v55, v54
	v_mov_b32_e32 v10, v18
	v_fmac_f32_e32 v10, 0x3f5db3d7, v15
	v_fmac_f32_e32 v18, 0xbf5db3d7, v15
	v_add_f32_e32 v15, v56, v57
	v_add_f32_e32 v16, v13, v56
	v_fma_f32 v13, -0.5, v15, v13
	v_fmac_f32_e32 v45, 0x3f5db3d7, v26
	v_sub_f32_e32 v26, v31, v28
	v_mov_b32_e32 v15, v13
	v_fmac_f32_e32 v15, 0xbf5db3d7, v26
	v_fmac_f32_e32 v13, 0x3f5db3d7, v26
	v_add_f32_e32 v26, v16, v57
	v_add_f32_e32 v16, v14, v31
	v_fmac_f32_e32 v46, 0xbf5db3d7, v27
	v_add_f32_e32 v27, v16, v28
	v_add_f32_e32 v16, v31, v28
	v_fmac_f32_e32 v14, -0.5, v16
	v_sub_f32_e32 v28, v56, v57
	v_mov_b32_e32 v16, v14
	v_fmac_f32_e32 v16, 0x3f5db3d7, v28
	v_fmac_f32_e32 v14, 0xbf5db3d7, v28
	ds_write_b64 v29, v[45:46] offset:96
	v_mul_u32_u24_e32 v28, 0x90, v48
	v_lshlrev_b32_sdwa v29, v19, v49 dst_sel:DWORD dst_unused:UNUSED_PAD src0_sel:DWORD src1_sel:BYTE_0
	v_add3_u32 v28, 0, v28, v29
	ds_write2_b64 v28, v[11:12], v[9:10] offset1:6
	ds_write_b64 v28, v[17:18] offset:96
	v_mul_u32_u24_e32 v9, 0x90, v50
	v_lshlrev_b32_e32 v10, 3, v51
	v_add3_u32 v9, 0, v9, v10
	ds_write2_b64 v9, v[26:27], v[15:16] offset1:6
	ds_write_b64 v9, v[13:14] offset:96
	v_mov_b32_e32 v13, 57
	v_mul_lo_u16_sdwa v9, v32, v13 dst_sel:DWORD dst_unused:UNUSED_PAD src0_sel:BYTE_0 src1_sel:DWORD
	v_lshrrev_b16_e32 v41, 10, v9
	v_mul_lo_u16_e32 v9, 18, v41
	v_sub_u16_e32 v42, v32, v9
	v_lshlrev_b32_sdwa v9, v8, v42 dst_sel:DWORD dst_unused:UNUSED_PAD src0_sel:DWORD src1_sel:BYTE_0
	s_waitcnt lgkmcnt(0)
	s_barrier
	global_load_dwordx4 v[9:12], v9, s[12:13] offset:128
	v_mul_lo_u16_sdwa v13, v33, v13 dst_sel:DWORD dst_unused:UNUSED_PAD src0_sel:BYTE_0 src1_sel:DWORD
	v_lshrrev_b16_e32 v43, 10, v13
	v_mul_lo_u16_e32 v13, 18, v43
	v_sub_u16_e32 v44, v33, v13
	v_mul_u32_u24_sdwa v17, v4, s0 dst_sel:DWORD dst_unused:UNUSED_PAD src0_sel:WORD_0 src1_sel:DWORD
	v_lshlrev_b32_sdwa v13, v8, v44 dst_sel:DWORD dst_unused:UNUSED_PAD src0_sel:DWORD src1_sel:BYTE_0
	global_load_dwordx4 v[13:16], v13, s[12:13] offset:128
	v_lshrrev_b32_e32 v45, 20, v17
	v_mul_lo_u16_e32 v17, 18, v45
	v_sub_u16_e32 v46, v4, v17
	v_lshlrev_b32_e32 v17, 4, v46
	global_load_dwordx4 v[26:29], v17, s[12:13] offset:128
	ds_read_b64 v[17:18], v3
	ds_read_b64 v[30:31], v7
	ds_read2_b64 v[35:38], v5 offset0:116 offset1:242
	ds_read_b64 v[39:40], v34 offset:8064
	v_cmp_gt_u32_e64 s[0:1], 36, v32
	s_waitcnt vmcnt(2) lgkmcnt(3)
	v_mul_f32_e32 v47, v10, v18
	v_mul_f32_e32 v10, v10, v17
	v_fmac_f32_e32 v47, v9, v17
	v_fma_f32 v17, v9, v18, -v10
	s_waitcnt lgkmcnt(1)
	v_mul_f32_e32 v18, v12, v36
	v_mul_f32_e32 v9, v12, v35
	v_fmac_f32_e32 v18, v11, v35
	v_fma_f32 v35, v11, v36, -v9
	ds_read2_b64 v[9:12], v6 offset0:120 offset1:246
	s_waitcnt vmcnt(1)
	v_mul_f32_e32 v36, v16, v38
	v_mul_f32_e32 v16, v16, v37
	v_fmac_f32_e32 v36, v15, v37
	v_fma_f32 v37, v15, v38, -v16
	s_waitcnt lgkmcnt(0)
	v_mul_f32_e32 v38, v14, v10
	v_fmac_f32_e32 v38, v13, v9
	v_mul_f32_e32 v9, v14, v9
	v_fma_f32 v48, v13, v10, -v9
	s_waitcnt vmcnt(0)
	v_mul_f32_e32 v9, v27, v11
	v_fma_f32 v50, v26, v12, -v9
	ds_read_b64 v[9:10], v34
	ds_read_b64 v[15:16], v1
	v_mul_f32_e32 v49, v27, v12
	v_fmac_f32_e32 v49, v26, v11
	v_mul_f32_e32 v51, v40, v29
	v_mul_f32_e32 v11, v39, v29
	v_add_f32_e32 v12, v47, v18
	v_add_f32_e32 v13, v17, v35
	v_fmac_f32_e32 v51, v39, v28
	v_fma_f32 v28, v40, v28, -v11
	s_waitcnt lgkmcnt(1)
	v_add_f32_e32 v11, v9, v47
	v_fma_f32 v9, -0.5, v12, v9
	v_add_f32_e32 v12, v10, v17
	v_fmac_f32_e32 v10, -0.5, v13
	v_mul_u32_u24_e32 v13, 0x1b0, v41
	v_lshlrev_b32_sdwa v14, v19, v42 dst_sel:DWORD dst_unused:UNUSED_PAD src0_sel:DWORD src1_sel:BYTE_0
	v_sub_f32_e32 v26, v17, v35
	v_sub_f32_e32 v17, v47, v18
	v_add3_u32 v29, 0, v13, v14
	v_mov_b32_e32 v13, v9
	v_mov_b32_e32 v14, v10
	v_add_f32_e32 v11, v11, v18
	v_add_f32_e32 v12, v12, v35
	v_fmac_f32_e32 v13, 0xbf5db3d7, v26
	v_fmac_f32_e32 v14, 0x3f5db3d7, v17
	s_waitcnt lgkmcnt(0)
	s_barrier
	ds_write2_b64 v29, v[11:12], v[13:14] offset1:18
	v_add_f32_e32 v11, v38, v36
	v_add_f32_e32 v12, v30, v38
	v_fma_f32 v30, -0.5, v11, v30
	v_sub_f32_e32 v13, v48, v37
	v_mov_b32_e32 v11, v30
	v_fmac_f32_e32 v11, 0xbf5db3d7, v13
	v_fmac_f32_e32 v30, 0x3f5db3d7, v13
	v_add_f32_e32 v13, v12, v36
	v_add_f32_e32 v12, v31, v48
	;; [unrolled: 1-line block ×4, first 2 shown]
	v_fmac_f32_e32 v31, -0.5, v12
	v_fmac_f32_e32 v10, 0xbf5db3d7, v17
	v_sub_f32_e32 v17, v38, v36
	v_mov_b32_e32 v12, v31
	v_fmac_f32_e32 v12, 0x3f5db3d7, v17
	v_fmac_f32_e32 v31, 0xbf5db3d7, v17
	v_add_f32_e32 v17, v49, v51
	v_add_f32_e32 v18, v15, v49
	v_fma_f32 v15, -0.5, v17, v15
	v_fmac_f32_e32 v9, 0x3f5db3d7, v26
	v_sub_f32_e32 v26, v50, v28
	v_mov_b32_e32 v17, v15
	v_fmac_f32_e32 v17, 0xbf5db3d7, v26
	v_fmac_f32_e32 v15, 0x3f5db3d7, v26
	v_add_f32_e32 v26, v18, v51
	v_add_f32_e32 v18, v16, v50
	;; [unrolled: 1-line block ×4, first 2 shown]
	ds_write_b64 v29, v[9:10] offset:288
	v_mul_u32_u24_e32 v9, 0x1b0, v43
	v_lshlrev_b32_sdwa v10, v19, v44 dst_sel:DWORD dst_unused:UNUSED_PAD src0_sel:DWORD src1_sel:BYTE_0
	v_fmac_f32_e32 v16, -0.5, v18
	v_add3_u32 v9, 0, v9, v10
	v_sub_f32_e32 v28, v49, v51
	v_mov_b32_e32 v18, v16
	ds_write2_b64 v9, v[13:14], v[11:12] offset1:18
	ds_write_b64 v9, v[30:31] offset:288
	v_mul_u32_u24_e32 v9, 0x1b0, v45
	v_lshlrev_b32_e32 v10, 3, v46
	v_fmac_f32_e32 v18, 0x3f5db3d7, v28
	v_add3_u32 v9, 0, v9, v10
	v_mov_b32_e32 v13, 19
	v_fmac_f32_e32 v16, 0xbf5db3d7, v28
	ds_write2_b64 v9, v[26:27], v[17:18] offset1:18
	ds_write_b64 v9, v[15:16] offset:288
	v_mul_lo_u16_sdwa v9, v32, v13 dst_sel:DWORD dst_unused:UNUSED_PAD src0_sel:BYTE_0 src1_sel:DWORD
	v_lshrrev_b16_e32 v39, 10, v9
	v_mul_lo_u16_e32 v9, 54, v39
	v_mul_lo_u16_sdwa v13, v33, v13 dst_sel:DWORD dst_unused:UNUSED_PAD src0_sel:BYTE_0 src1_sel:DWORD
	v_sub_u16_e32 v40, v32, v9
	v_lshrrev_b16_e32 v41, 10, v13
	v_lshlrev_b32_sdwa v9, v8, v40 dst_sel:DWORD dst_unused:UNUSED_PAD src0_sel:DWORD src1_sel:BYTE_0
	v_mul_lo_u16_e32 v13, 54, v41
	s_waitcnt lgkmcnt(0)
	s_barrier
	global_load_dwordx4 v[9:12], v9, s[12:13] offset:416
	v_sub_u16_e32 v42, v33, v13
	v_lshlrev_b32_sdwa v8, v8, v42 dst_sel:DWORD dst_unused:UNUSED_PAD src0_sel:DWORD src1_sel:BYTE_0
	global_load_dwordx4 v[13:16], v8, s[12:13] offset:416
	v_lshrrev_b16_e32 v8, 1, v4
	v_mul_u32_u24_e32 v8, 0x97b5, v8
	v_lshrrev_b32_e32 v43, 20, v8
	v_mul_lo_u16_e32 v8, 54, v43
	v_sub_u16_e32 v44, v4, v8
	v_lshlrev_b32_e32 v4, 4, v44
	global_load_dwordx4 v[26:29], v4, s[12:13] offset:416
	ds_read_b64 v[3:4], v3
	ds_read_b64 v[17:18], v7
	ds_read2_b64 v[35:38], v5 offset0:116 offset1:242
	ds_read_b64 v[30:31], v34 offset:8064
	s_waitcnt vmcnt(2) lgkmcnt(3)
	v_mul_f32_e32 v45, v10, v4
	v_fmac_f32_e32 v45, v9, v3
	v_mul_f32_e32 v3, v10, v3
	v_fma_f32 v10, v9, v4, -v3
	ds_read2_b64 v[6:9], v6 offset0:120 offset1:246
	s_waitcnt lgkmcnt(2)
	v_mul_f32_e32 v46, v12, v36
	v_mul_f32_e32 v3, v12, v35
	v_fmac_f32_e32 v46, v11, v35
	v_fma_f32 v11, v11, v36, -v3
	s_waitcnt vmcnt(1)
	v_mul_f32_e32 v35, v16, v38
	v_mul_f32_e32 v3, v16, v37
	v_fmac_f32_e32 v35, v15, v37
	v_fma_f32 v15, v15, v38, -v3
	s_waitcnt lgkmcnt(0)
	v_mul_f32_e32 v3, v14, v6
	v_mul_f32_e32 v16, v14, v7
	v_fma_f32 v14, v13, v7, -v3
	s_waitcnt vmcnt(0)
	v_mul_f32_e32 v3, v27, v8
	v_mul_f32_e32 v36, v27, v9
	v_fma_f32 v27, v26, v9, -v3
	ds_read_b64 v[3:4], v34
	v_fmac_f32_e32 v16, v13, v6
	v_mul_f32_e32 v37, v31, v29
	v_mul_f32_e32 v6, v30, v29
	v_fmac_f32_e32 v37, v30, v28
	v_fma_f32 v30, v31, v28, -v6
	ds_read_b64 v[28:29], v1
	v_add_f32_e32 v6, v45, v46
	s_waitcnt lgkmcnt(1)
	v_add_f32_e32 v7, v3, v45
	v_fma_f32 v3, -0.5, v6, v3
	v_fmac_f32_e32 v36, v26, v8
	v_sub_f32_e32 v8, v10, v11
	v_mov_b32_e32 v6, v3
	v_fmac_f32_e32 v6, 0xbf5db3d7, v8
	v_fmac_f32_e32 v3, 0x3f5db3d7, v8
	v_add_f32_e32 v8, v7, v46
	v_add_f32_e32 v7, v4, v10
	;; [unrolled: 1-line block ×4, first 2 shown]
	v_fmac_f32_e32 v4, -0.5, v7
	v_sub_f32_e32 v10, v45, v46
	v_mov_b32_e32 v7, v4
	v_fmac_f32_e32 v7, 0x3f5db3d7, v10
	v_fmac_f32_e32 v4, 0xbf5db3d7, v10
	v_add_f32_e32 v10, v16, v35
	v_add_f32_e32 v11, v17, v16
	v_fma_f32 v17, -0.5, v10, v17
	v_sub_f32_e32 v12, v14, v15
	v_mov_b32_e32 v10, v17
	v_fmac_f32_e32 v10, 0xbf5db3d7, v12
	v_fmac_f32_e32 v17, 0x3f5db3d7, v12
	v_add_f32_e32 v12, v11, v35
	v_add_f32_e32 v11, v18, v14
	;; [unrolled: 1-line block ×4, first 2 shown]
	v_fmac_f32_e32 v18, -0.5, v11
	v_sub_f32_e32 v1, v16, v35
	v_mov_b32_e32 v11, v18
	v_add_f32_e32 v14, v36, v37
	v_fmac_f32_e32 v11, 0x3f5db3d7, v1
	v_fmac_f32_e32 v18, 0xbf5db3d7, v1
	s_waitcnt lgkmcnt(0)
	v_add_f32_e32 v1, v28, v36
	v_fma_f32 v28, -0.5, v14, v28
	v_sub_f32_e32 v14, v27, v30
	v_mov_b32_e32 v26, v28
	v_fmac_f32_e32 v26, 0xbf5db3d7, v14
	v_fmac_f32_e32 v28, 0x3f5db3d7, v14
	v_add_f32_e32 v14, v1, v37
	v_add_f32_e32 v1, v29, v27
	;; [unrolled: 1-line block ×4, first 2 shown]
	v_fmac_f32_e32 v29, -0.5, v1
	v_sub_f32_e32 v1, v36, v37
	v_mov_b32_e32 v27, v29
	v_fmac_f32_e32 v27, 0x3f5db3d7, v1
	v_fmac_f32_e32 v29, 0xbf5db3d7, v1
	v_mul_u32_u24_e32 v1, 0x510, v39
	v_lshlrev_b32_sdwa v16, v19, v40 dst_sel:DWORD dst_unused:UNUSED_PAD src0_sel:DWORD src1_sel:BYTE_0
	v_add3_u32 v1, 0, v1, v16
	s_barrier
	ds_write2_b64 v1, v[8:9], v[6:7] offset1:54
	ds_write_b64 v1, v[3:4] offset:864
	v_mul_u32_u24_e32 v1, 0x510, v41
	v_lshlrev_b32_sdwa v3, v19, v42 dst_sel:DWORD dst_unused:UNUSED_PAD src0_sel:DWORD src1_sel:BYTE_0
	v_add3_u32 v1, 0, v1, v3
	ds_write2_b64 v1, v[12:13], v[10:11] offset1:54
	ds_write_b64 v1, v[17:18] offset:864
	v_mul_u32_u24_e32 v1, 0x510, v43
	v_lshlrev_b32_e32 v3, 3, v44
	v_add3_u32 v1, 0, v1, v3
	v_add_u32_e32 v35, 0x800, v34
	ds_write2_b64 v1, v[14:15], v[26:27] offset1:54
	ds_write_b64 v1, v[28:29] offset:864
	s_waitcnt lgkmcnt(0)
	s_barrier
	ds_read2_b64 v[8:11], v34 offset1:162
	ds_read2_b64 v[16:19], v35 offset0:68 offset1:230
	ds_read2_b64 v[12:15], v5 offset0:8 offset1:170
	ds_read_b64 v[30:31], v34 offset:7776
                                        ; implicit-def: $vgpr3
                                        ; implicit-def: $vgpr7
	s_and_saveexec_b64 s[6:7], s[0:1]
	s_cbranch_execz .LBB0_17
; %bb.16:
	v_sub_u32_e32 v0, 0, v0
	v_add_u32_e32 v0, v2, v0
	ds_read_b64 v[26:27], v0
	ds_read_b64 v[28:29], v34 offset:2304
	v_add_u32_e32 v0, 0xc00, v34
	ds_read2_b32 v[24:25], v0 offset0:132 offset1:133
	v_add_u32_e32 v0, 0x1200, v34
	v_add_u32_e32 v4, 0x1c00, v34
	ds_read2_b64 v[0:3], v0 offset0:36 offset1:198
	ds_read2_b64 v[4:7], v4 offset0:40 offset1:202
.LBB0_17:
	s_or_b64 exec, exec, s[6:7]
	v_mul_u32_u24_e32 v36, 6, v32
	v_lshlrev_b32_e32 v48, 3, v36
	global_load_dwordx4 v[36:39], v48, s[12:13] offset:1280
	global_load_dwordx4 v[40:43], v48, s[12:13] offset:1296
	;; [unrolled: 1-line block ×3, first 2 shown]
	s_mov_b32 s8, 0xbf5ff5aa
	s_mov_b32 s9, 0x3f3bfb3b
	;; [unrolled: 1-line block ×4, first 2 shown]
	s_waitcnt vmcnt(0) lgkmcnt(0)
	s_barrier
	v_mul_f32_e32 v48, v37, v11
	v_mul_f32_e32 v37, v37, v10
	;; [unrolled: 1-line block ×12, first 2 shown]
	v_fmac_f32_e32 v48, v36, v10
	v_fma_f32 v10, v36, v11, -v37
	v_fmac_f32_e32 v49, v38, v16
	v_fma_f32 v11, v38, v17, -v39
	;; [unrolled: 2-line block ×6, first 2 shown]
	v_add_f32_e32 v15, v48, v53
	v_add_f32_e32 v17, v10, v14
	v_sub_f32_e32 v10, v10, v14
	v_add_f32_e32 v14, v49, v52
	v_add_f32_e32 v19, v11, v13
	v_sub_f32_e32 v30, v49, v52
	v_sub_f32_e32 v11, v11, v13
	v_add_f32_e32 v13, v50, v51
	v_add_f32_e32 v31, v16, v12
	v_sub_f32_e32 v36, v51, v50
	;; [unrolled: 4-line block ×3, first 2 shown]
	v_sub_f32_e32 v38, v14, v15
	v_sub_f32_e32 v39, v19, v17
	;; [unrolled: 1-line block ×6, first 2 shown]
	v_add_f32_e32 v40, v36, v30
	v_add_f32_e32 v41, v12, v11
	v_sub_f32_e32 v42, v36, v30
	v_sub_f32_e32 v43, v12, v11
	v_add_f32_e32 v13, v13, v16
	v_add_f32_e32 v16, v31, v37
	v_sub_f32_e32 v36, v18, v36
	v_sub_f32_e32 v12, v10, v12
	;; [unrolled: 1-line block ×4, first 2 shown]
	v_add_f32_e32 v18, v40, v18
	v_add_f32_e32 v10, v41, v10
	v_mul_f32_e32 v15, 0x3f4a47b2, v15
	v_mul_f32_e32 v17, 0x3f4a47b2, v17
	;; [unrolled: 1-line block ×6, first 2 shown]
	v_add_f32_e32 v8, v13, v8
	v_add_f32_e32 v9, v16, v9
	v_mul_f32_e32 v42, 0xbf5ff5aa, v30
	v_mul_f32_e32 v43, 0xbf5ff5aa, v11
	v_fma_f32 v31, v38, s9, -v31
	v_fma_f32 v37, v39, s9, -v37
	;; [unrolled: 1-line block ×3, first 2 shown]
	v_fmac_f32_e32 v15, 0x3d64c772, v14
	v_fma_f32 v14, v39, s14, -v17
	v_fmac_f32_e32 v17, 0x3d64c772, v19
	v_fma_f32 v19, v30, s8, -v40
	v_fma_f32 v30, v11, s8, -v41
	v_mov_b32_e32 v11, v8
	v_mov_b32_e32 v39, v9
	v_fmac_f32_e32 v40, 0xbeae86e6, v36
	v_fmac_f32_e32 v41, 0xbeae86e6, v12
	;; [unrolled: 1-line block ×4, first 2 shown]
	v_fma_f32 v36, v36, s15, -v42
	v_fma_f32 v42, v12, s15, -v43
	v_add_f32_e32 v43, v15, v11
	v_add_f32_e32 v44, v17, v39
	v_fmac_f32_e32 v40, 0xbee1c552, v18
	v_fmac_f32_e32 v41, 0xbee1c552, v10
	v_add_f32_e32 v16, v31, v11
	v_add_f32_e32 v17, v37, v39
	;; [unrolled: 1-line block ×4, first 2 shown]
	v_fmac_f32_e32 v19, 0xbee1c552, v18
	v_fmac_f32_e32 v30, 0xbee1c552, v10
	v_fmac_f32_e32 v36, 0xbee1c552, v18
	v_fmac_f32_e32 v42, 0xbee1c552, v10
	v_add_f32_e32 v10, v41, v43
	v_sub_f32_e32 v11, v44, v40
	v_add_f32_e32 v12, v42, v31
	v_sub_f32_e32 v13, v37, v36
	v_sub_f32_e32 v14, v16, v30
	v_add_f32_e32 v15, v19, v17
	v_add_f32_e32 v16, v30, v16
	v_sub_f32_e32 v17, v17, v19
	v_sub_f32_e32 v18, v31, v42
	v_add_f32_e32 v19, v36, v37
	ds_write2_b64 v34, v[8:9], v[10:11] offset1:162
	ds_write2_b64 v35, v[12:13], v[14:15] offset0:68 offset1:230
	v_add_u32_e32 v8, 0x1400, v34
	v_sub_f32_e32 v30, v43, v41
	v_add_f32_e32 v31, v40, v44
	ds_write2_b64 v8, v[16:17], v[18:19] offset0:8 offset1:170
	ds_write_b64 v34, v[30:31] offset:7776
	s_and_saveexec_b64 s[6:7], s[0:1]
	s_cbranch_execz .LBB0_19
; %bb.18:
	v_subrev_u32_e32 v8, 36, v32
	v_cndmask_b32_e64 v8, v8, v33, s[0:1]
	v_mul_i32_i24_e32 v8, 6, v8
	v_mov_b32_e32 v9, 0
	v_lshlrev_b64 v[8:9], 3, v[8:9]
	v_mov_b32_e32 v10, s13
	v_add_co_u32_e64 v30, s[0:1], s12, v8
	v_addc_co_u32_e64 v31, s[0:1], v10, v9, s[0:1]
	global_load_dwordx4 v[8:11], v[30:31], off offset:1280
	global_load_dwordx4 v[12:15], v[30:31], off offset:1312
	;; [unrolled: 1-line block ×3, first 2 shown]
	s_waitcnt vmcnt(2)
	v_mul_f32_e32 v30, v29, v9
	s_waitcnt vmcnt(1)
	v_mul_f32_e32 v31, v7, v15
	;; [unrolled: 2-line block ×3, first 2 shown]
	v_mul_f32_e32 v35, v1, v17
	v_mul_f32_e32 v36, v25, v11
	;; [unrolled: 1-line block ×9, first 2 shown]
	v_fmac_f32_e32 v30, v28, v8
	v_fmac_f32_e32 v31, v6, v14
	;; [unrolled: 1-line block ×6, first 2 shown]
	v_fma_f32 v0, v7, v14, -v15
	v_fma_f32 v2, v29, v8, -v9
	;; [unrolled: 1-line block ×6, first 2 shown]
	v_sub_f32_e32 v7, v33, v35
	v_sub_f32_e32 v8, v36, v37
	v_add_f32_e32 v9, v2, v0
	v_add_f32_e32 v10, v1, v3
	;; [unrolled: 1-line block ×6, first 2 shown]
	v_sub_f32_e32 v6, v30, v31
	v_sub_f32_e32 v15, v2, v0
	;; [unrolled: 1-line block ×5, first 2 shown]
	v_add_f32_e32 v3, v7, v8
	v_sub_f32_e32 v5, v9, v10
	v_add_f32_e32 v16, v11, v9
	v_sub_f32_e32 v17, v12, v13
	;; [unrolled: 2-line block ×3, first 2 shown]
	v_sub_f32_e32 v7, v10, v11
	v_sub_f32_e32 v18, v13, v14
	;; [unrolled: 1-line block ×4, first 2 shown]
	v_add_f32_e32 v0, v0, v4
	v_sub_f32_e32 v8, v8, v6
	v_sub_f32_e32 v9, v11, v9
	v_mul_f32_e32 v11, 0x3f08b237, v1
	v_add_f32_e32 v6, v3, v6
	v_mul_f32_e32 v5, 0x3f4a47b2, v5
	v_add_f32_e32 v3, v10, v16
	;; [unrolled: 2-line block ×4, first 2 shown]
	v_mul_f32_e32 v25, 0xbf5ff5aa, v8
	v_mov_b32_e32 v29, v11
	v_mov_b32_e32 v30, v5
	v_add_f32_e32 v1, v27, v3
	v_mov_b32_e32 v27, v10
	v_add_f32_e32 v0, v26, v13
	v_mul_f32_e32 v28, 0x3d64c772, v7
	v_mul_f32_e32 v16, 0x3d64c772, v18
	v_mov_b32_e32 v26, v17
	v_fma_f32 v25, v2, s15, -v25
	v_fmac_f32_e32 v29, 0xbeae86e6, v2
	v_fmac_f32_e32 v30, 0x3d64c772, v7
	v_mov_b32_e32 v7, v1
	v_fmac_f32_e32 v27, 0x3d64c772, v18
	v_mov_b32_e32 v18, v0
	v_sub_f32_e32 v12, v14, v12
	v_sub_f32_e32 v14, v4, v15
	v_fma_f32 v8, v8, s8, -v11
	v_fmac_f32_e32 v26, 0xbeae86e6, v24
	v_fmac_f32_e32 v25, 0xbee1c552, v6
	;; [unrolled: 1-line block ×5, first 2 shown]
	v_fma_f32 v5, v9, s14, -v5
	v_mul_f32_e32 v4, 0xbf5ff5aa, v14
	v_fma_f32 v9, v9, s9, -v28
	v_fmac_f32_e32 v8, 0xbee1c552, v6
	v_fma_f32 v11, v14, s8, -v17
	v_fma_f32 v6, v12, s9, -v16
	v_fmac_f32_e32 v26, 0xbee1c552, v19
	v_add_f32_e32 v13, v30, v7
	v_add_f32_e32 v27, v27, v18
	v_fma_f32 v10, v12, s14, -v10
	v_fma_f32 v15, v24, s15, -v4
	v_add_f32_e32 v9, v9, v7
	v_fmac_f32_e32 v11, 0xbee1c552, v19
	v_add_f32_e32 v12, v6, v18
	v_add_f32_e32 v3, v29, v13
	;; [unrolled: 1-line block ×4, first 2 shown]
	v_fmac_f32_e32 v15, 0xbee1c552, v19
	v_sub_f32_e32 v7, v9, v8
	v_add_f32_e32 v6, v11, v12
	v_add_f32_e32 v9, v8, v9
	v_sub_f32_e32 v8, v12, v11
	v_sub_f32_e32 v13, v13, v29
	v_add_f32_e32 v12, v26, v27
	v_add_u32_e32 v14, 0x200, v34
	v_sub_f32_e32 v4, v10, v15
	v_sub_f32_e32 v11, v30, v25
	v_add_f32_e32 v10, v15, v10
	ds_write2_b64 v14, v[0:1], v[12:13] offset0:62 offset1:224
	v_add_u32_e32 v0, 0xc00, v34
	v_add_f32_e32 v5, v25, v30
	ds_write2_b64 v0, v[10:11], v[8:9] offset0:66 offset1:228
	v_add_u32_e32 v0, 0x1800, v34
	v_sub_f32_e32 v2, v27, v26
	ds_write2_b64 v0, v[6:7], v[4:5] offset0:6 offset1:168
	ds_write_b64 v34, v[2:3] offset:8784
.LBB0_19:
	s_or_b64 exec, exec, s[6:7]
	s_waitcnt lgkmcnt(0)
	s_barrier
	s_and_saveexec_b64 s[0:1], vcc
	s_cbranch_execz .LBB0_21
; %bb.20:
	v_mul_lo_u32 v2, s5, v22
	v_mul_lo_u32 v3, s4, v23
	v_mad_u64_u32 v[6:7], s[0:1], s4, v22, 0
	v_mad_u64_u32 v[4:5], s[0:1], s2, v32, 0
	v_add3_u32 v7, v7, v3, v2
	v_lshlrev_b64 v[6:7], 3, v[6:7]
	v_mov_b32_e32 v8, s11
	v_add_co_u32_e32 v9, vcc, s10, v6
	v_addc_co_u32_e32 v8, vcc, v8, v7, vcc
	v_lshlrev_b64 v[6:7], 3, v[20:21]
	v_mov_b32_e32 v0, v5
	v_add_co_u32_e32 v11, vcc, v9, v6
	v_addc_co_u32_e32 v12, vcc, v8, v7, vcc
	v_add_u32_e32 v8, 0x7e, v32
	v_mad_u64_u32 v[0:1], s[0:1], s3, v32, v[0:1]
	v_mad_u64_u32 v[6:7], s[0:1], s2, v8, 0
	v_lshl_add_u32 v10, v32, 3, 0
	v_mov_b32_e32 v5, v0
	ds_read2_b64 v[0:3], v10 offset1:126
	v_mad_u64_u32 v[7:8], s[0:1], s3, v8, v[7:8]
	v_add_u32_e32 v13, 0xfc, v32
	v_lshlrev_b64 v[4:5], 3, v[4:5]
	v_mad_u64_u32 v[8:9], s[0:1], s2, v13, 0
	v_add_co_u32_e32 v4, vcc, v11, v4
	v_addc_co_u32_e32 v5, vcc, v12, v5, vcc
	s_waitcnt lgkmcnt(0)
	global_store_dwordx2 v[4:5], v[0:1], off
	v_mov_b32_e32 v4, v9
	v_mad_u64_u32 v[4:5], s[0:1], s3, v13, v[4:5]
	v_lshlrev_b64 v[0:1], 3, v[6:7]
	v_add_u32_e32 v13, 0x1f8, v32
	v_mov_b32_e32 v9, v4
	v_lshlrev_b64 v[4:5], 3, v[8:9]
	v_add_u32_e32 v8, 0x17a, v32
	v_mad_u64_u32 v[6:7], s[0:1], s2, v8, 0
	v_add_co_u32_e32 v0, vcc, v11, v0
	v_addc_co_u32_e32 v1, vcc, v12, v1, vcc
	global_store_dwordx2 v[0:1], v[2:3], off
	v_add_u32_e32 v0, 0x400, v10
	ds_read2_b64 v[0:3], v0 offset0:124 offset1:250
	v_mad_u64_u32 v[7:8], s[0:1], s3, v8, v[7:8]
	v_mad_u64_u32 v[8:9], s[0:1], s2, v13, 0
	v_add_co_u32_e32 v4, vcc, v11, v4
	v_addc_co_u32_e32 v5, vcc, v12, v5, vcc
	s_waitcnt lgkmcnt(0)
	global_store_dwordx2 v[4:5], v[0:1], off
	v_mov_b32_e32 v4, v9
	v_mad_u64_u32 v[4:5], s[0:1], s3, v13, v[4:5]
	v_lshlrev_b64 v[0:1], 3, v[6:7]
	v_add_u32_e32 v13, 0x2f4, v32
	v_mov_b32_e32 v9, v4
	v_lshlrev_b64 v[4:5], 3, v[8:9]
	v_add_u32_e32 v8, 0x276, v32
	v_mad_u64_u32 v[6:7], s[0:1], s2, v8, 0
	v_add_co_u32_e32 v0, vcc, v11, v0
	v_addc_co_u32_e32 v1, vcc, v12, v1, vcc
	global_store_dwordx2 v[0:1], v[2:3], off
	v_add_u32_e32 v0, 0xc00, v10
	ds_read2_b64 v[0:3], v0 offset0:120 offset1:246
	v_mad_u64_u32 v[7:8], s[0:1], s3, v8, v[7:8]
	;; [unrolled: 19-line block ×3, first 2 shown]
	v_mad_u64_u32 v[8:9], s[0:1], s2, v13, 0
	v_add_co_u32_e32 v4, vcc, v11, v4
	v_addc_co_u32_e32 v5, vcc, v12, v5, vcc
	s_waitcnt lgkmcnt(0)
	global_store_dwordx2 v[4:5], v[0:1], off
	v_mov_b32_e32 v4, v9
	v_lshlrev_b64 v[0:1], 3, v[6:7]
	v_mad_u64_u32 v[4:5], s[0:1], s3, v13, v[4:5]
	v_add_co_u32_e32 v0, vcc, v11, v0
	v_addc_co_u32_e32 v1, vcc, v12, v1, vcc
	global_store_dwordx2 v[0:1], v[2:3], off
	v_mov_b32_e32 v9, v4
	ds_read_b64 v[0:1], v10 offset:8064
	v_lshlrev_b64 v[2:3], 3, v[8:9]
	v_add_co_u32_e32 v2, vcc, v11, v2
	v_addc_co_u32_e32 v3, vcc, v12, v3, vcc
	s_waitcnt lgkmcnt(0)
	global_store_dwordx2 v[2:3], v[0:1], off
.LBB0_21:
	s_endpgm
	.section	.rodata,"a",@progbits
	.p2align	6, 0x0
	.amdhsa_kernel fft_rtc_back_len1134_factors_2_3_3_3_3_7_wgs_126_tpt_126_sp_op_CI_CI_sbrr_dirReg
		.amdhsa_group_segment_fixed_size 0
		.amdhsa_private_segment_fixed_size 0
		.amdhsa_kernarg_size 104
		.amdhsa_user_sgpr_count 6
		.amdhsa_user_sgpr_private_segment_buffer 1
		.amdhsa_user_sgpr_dispatch_ptr 0
		.amdhsa_user_sgpr_queue_ptr 0
		.amdhsa_user_sgpr_kernarg_segment_ptr 1
		.amdhsa_user_sgpr_dispatch_id 0
		.amdhsa_user_sgpr_flat_scratch_init 0
		.amdhsa_user_sgpr_private_segment_size 0
		.amdhsa_uses_dynamic_stack 0
		.amdhsa_system_sgpr_private_segment_wavefront_offset 0
		.amdhsa_system_sgpr_workgroup_id_x 1
		.amdhsa_system_sgpr_workgroup_id_y 0
		.amdhsa_system_sgpr_workgroup_id_z 0
		.amdhsa_system_sgpr_workgroup_info 0
		.amdhsa_system_vgpr_workitem_id 0
		.amdhsa_next_free_vgpr 58
		.amdhsa_next_free_sgpr 32
		.amdhsa_reserve_vcc 1
		.amdhsa_reserve_flat_scratch 0
		.amdhsa_float_round_mode_32 0
		.amdhsa_float_round_mode_16_64 0
		.amdhsa_float_denorm_mode_32 3
		.amdhsa_float_denorm_mode_16_64 3
		.amdhsa_dx10_clamp 1
		.amdhsa_ieee_mode 1
		.amdhsa_fp16_overflow 0
		.amdhsa_exception_fp_ieee_invalid_op 0
		.amdhsa_exception_fp_denorm_src 0
		.amdhsa_exception_fp_ieee_div_zero 0
		.amdhsa_exception_fp_ieee_overflow 0
		.amdhsa_exception_fp_ieee_underflow 0
		.amdhsa_exception_fp_ieee_inexact 0
		.amdhsa_exception_int_div_zero 0
	.end_amdhsa_kernel
	.text
.Lfunc_end0:
	.size	fft_rtc_back_len1134_factors_2_3_3_3_3_7_wgs_126_tpt_126_sp_op_CI_CI_sbrr_dirReg, .Lfunc_end0-fft_rtc_back_len1134_factors_2_3_3_3_3_7_wgs_126_tpt_126_sp_op_CI_CI_sbrr_dirReg
                                        ; -- End function
	.section	.AMDGPU.csdata,"",@progbits
; Kernel info:
; codeLenInByte = 7204
; NumSgprs: 36
; NumVgprs: 58
; ScratchSize: 0
; MemoryBound: 0
; FloatMode: 240
; IeeeMode: 1
; LDSByteSize: 0 bytes/workgroup (compile time only)
; SGPRBlocks: 4
; VGPRBlocks: 14
; NumSGPRsForWavesPerEU: 36
; NumVGPRsForWavesPerEU: 58
; Occupancy: 4
; WaveLimiterHint : 1
; COMPUTE_PGM_RSRC2:SCRATCH_EN: 0
; COMPUTE_PGM_RSRC2:USER_SGPR: 6
; COMPUTE_PGM_RSRC2:TRAP_HANDLER: 0
; COMPUTE_PGM_RSRC2:TGID_X_EN: 1
; COMPUTE_PGM_RSRC2:TGID_Y_EN: 0
; COMPUTE_PGM_RSRC2:TGID_Z_EN: 0
; COMPUTE_PGM_RSRC2:TIDIG_COMP_CNT: 0
	.type	__hip_cuid_92aa8be243fdb01a,@object ; @__hip_cuid_92aa8be243fdb01a
	.section	.bss,"aw",@nobits
	.globl	__hip_cuid_92aa8be243fdb01a
__hip_cuid_92aa8be243fdb01a:
	.byte	0                               ; 0x0
	.size	__hip_cuid_92aa8be243fdb01a, 1

	.ident	"AMD clang version 19.0.0git (https://github.com/RadeonOpenCompute/llvm-project roc-6.4.0 25133 c7fe45cf4b819c5991fe208aaa96edf142730f1d)"
	.section	".note.GNU-stack","",@progbits
	.addrsig
	.addrsig_sym __hip_cuid_92aa8be243fdb01a
	.amdgpu_metadata
---
amdhsa.kernels:
  - .args:
      - .actual_access:  read_only
        .address_space:  global
        .offset:         0
        .size:           8
        .value_kind:     global_buffer
      - .offset:         8
        .size:           8
        .value_kind:     by_value
      - .actual_access:  read_only
        .address_space:  global
        .offset:         16
        .size:           8
        .value_kind:     global_buffer
      - .actual_access:  read_only
        .address_space:  global
        .offset:         24
        .size:           8
        .value_kind:     global_buffer
      - .actual_access:  read_only
        .address_space:  global
        .offset:         32
        .size:           8
        .value_kind:     global_buffer
      - .offset:         40
        .size:           8
        .value_kind:     by_value
      - .actual_access:  read_only
        .address_space:  global
        .offset:         48
        .size:           8
        .value_kind:     global_buffer
      - .actual_access:  read_only
        .address_space:  global
        .offset:         56
        .size:           8
        .value_kind:     global_buffer
      - .offset:         64
        .size:           4
        .value_kind:     by_value
      - .actual_access:  read_only
        .address_space:  global
        .offset:         72
        .size:           8
        .value_kind:     global_buffer
      - .actual_access:  read_only
        .address_space:  global
        .offset:         80
        .size:           8
        .value_kind:     global_buffer
      - .actual_access:  read_only
        .address_space:  global
        .offset:         88
        .size:           8
        .value_kind:     global_buffer
      - .actual_access:  write_only
        .address_space:  global
        .offset:         96
        .size:           8
        .value_kind:     global_buffer
    .group_segment_fixed_size: 0
    .kernarg_segment_align: 8
    .kernarg_segment_size: 104
    .language:       OpenCL C
    .language_version:
      - 2
      - 0
    .max_flat_workgroup_size: 126
    .name:           fft_rtc_back_len1134_factors_2_3_3_3_3_7_wgs_126_tpt_126_sp_op_CI_CI_sbrr_dirReg
    .private_segment_fixed_size: 0
    .sgpr_count:     36
    .sgpr_spill_count: 0
    .symbol:         fft_rtc_back_len1134_factors_2_3_3_3_3_7_wgs_126_tpt_126_sp_op_CI_CI_sbrr_dirReg.kd
    .uniform_work_group_size: 1
    .uses_dynamic_stack: false
    .vgpr_count:     58
    .vgpr_spill_count: 0
    .wavefront_size: 64
amdhsa.target:   amdgcn-amd-amdhsa--gfx906
amdhsa.version:
  - 1
  - 2
...

	.end_amdgpu_metadata
